;; amdgpu-corpus repo=ROCm/rocFFT kind=compiled arch=gfx1201 opt=O3
	.text
	.amdgcn_target "amdgcn-amd-amdhsa--gfx1201"
	.amdhsa_code_object_version 6
	.protected	fft_rtc_fwd_len52_factors_13_4_wgs_64_tpt_4_halfLds_dp_ip_CI_unitstride_sbrr_C2R_dirReg ; -- Begin function fft_rtc_fwd_len52_factors_13_4_wgs_64_tpt_4_halfLds_dp_ip_CI_unitstride_sbrr_C2R_dirReg
	.globl	fft_rtc_fwd_len52_factors_13_4_wgs_64_tpt_4_halfLds_dp_ip_CI_unitstride_sbrr_C2R_dirReg
	.p2align	8
	.type	fft_rtc_fwd_len52_factors_13_4_wgs_64_tpt_4_halfLds_dp_ip_CI_unitstride_sbrr_C2R_dirReg,@function
fft_rtc_fwd_len52_factors_13_4_wgs_64_tpt_4_halfLds_dp_ip_CI_unitstride_sbrr_C2R_dirReg: ; @fft_rtc_fwd_len52_factors_13_4_wgs_64_tpt_4_halfLds_dp_ip_CI_unitstride_sbrr_C2R_dirReg
; %bb.0:
	s_clause 0x2
	s_load_b128 s[4:7], s[0:1], 0x0
	s_load_b64 s[8:9], s[0:1], 0x50
	s_load_b64 s[10:11], s[0:1], 0x18
	v_lshrrev_b32_e32 v9, 2, v0
	v_mov_b32_e32 v3, 0
	v_mov_b32_e32 v1, 0
	;; [unrolled: 1-line block ×3, first 2 shown]
	s_delay_alu instid0(VALU_DEP_4) | instskip(NEXT) | instid1(VALU_DEP_4)
	v_lshl_or_b32 v5, ttmp9, 4, v9
	v_mov_b32_e32 v6, v3
	s_wait_kmcnt 0x0
	v_cmp_lt_u64_e64 s2, s[6:7], 2
	s_delay_alu instid0(VALU_DEP_1)
	s_and_b32 vcc_lo, exec_lo, s2
	s_cbranch_vccnz .LBB0_8
; %bb.1:
	s_load_b64 s[2:3], s[0:1], 0x10
	v_mov_b32_e32 v1, 0
	v_mov_b32_e32 v2, 0
	s_add_nc_u64 s[12:13], s[10:11], 8
	s_mov_b64 s[14:15], 1
	s_wait_kmcnt 0x0
	s_add_nc_u64 s[16:17], s[2:3], 8
	s_mov_b32 s3, 0
.LBB0_2:                                ; =>This Inner Loop Header: Depth=1
	s_load_b64 s[18:19], s[16:17], 0x0
                                        ; implicit-def: $vgpr7_vgpr8
	s_mov_b32 s2, exec_lo
	s_wait_kmcnt 0x0
	v_or_b32_e32 v4, s19, v6
	s_delay_alu instid0(VALU_DEP_1)
	v_cmpx_ne_u64_e32 0, v[3:4]
	s_wait_alu 0xfffe
	s_xor_b32 s20, exec_lo, s2
	s_cbranch_execz .LBB0_4
; %bb.3:                                ;   in Loop: Header=BB0_2 Depth=1
	s_cvt_f32_u32 s2, s18
	s_cvt_f32_u32 s21, s19
	s_sub_nc_u64 s[24:25], 0, s[18:19]
	s_wait_alu 0xfffe
	s_delay_alu instid0(SALU_CYCLE_1) | instskip(SKIP_1) | instid1(SALU_CYCLE_2)
	s_fmamk_f32 s2, s21, 0x4f800000, s2
	s_wait_alu 0xfffe
	v_s_rcp_f32 s2, s2
	s_delay_alu instid0(TRANS32_DEP_1) | instskip(SKIP_1) | instid1(SALU_CYCLE_2)
	s_mul_f32 s2, s2, 0x5f7ffffc
	s_wait_alu 0xfffe
	s_mul_f32 s21, s2, 0x2f800000
	s_wait_alu 0xfffe
	s_delay_alu instid0(SALU_CYCLE_2) | instskip(SKIP_1) | instid1(SALU_CYCLE_2)
	s_trunc_f32 s21, s21
	s_wait_alu 0xfffe
	s_fmamk_f32 s2, s21, 0xcf800000, s2
	s_cvt_u32_f32 s23, s21
	s_wait_alu 0xfffe
	s_delay_alu instid0(SALU_CYCLE_1) | instskip(SKIP_1) | instid1(SALU_CYCLE_2)
	s_cvt_u32_f32 s22, s2
	s_wait_alu 0xfffe
	s_mul_u64 s[26:27], s[24:25], s[22:23]
	s_wait_alu 0xfffe
	s_mul_hi_u32 s29, s22, s27
	s_mul_i32 s28, s22, s27
	s_mul_hi_u32 s2, s22, s26
	s_mul_i32 s30, s23, s26
	s_wait_alu 0xfffe
	s_add_nc_u64 s[28:29], s[2:3], s[28:29]
	s_mul_hi_u32 s21, s23, s26
	s_mul_hi_u32 s31, s23, s27
	s_add_co_u32 s2, s28, s30
	s_wait_alu 0xfffe
	s_add_co_ci_u32 s2, s29, s21
	s_mul_i32 s26, s23, s27
	s_add_co_ci_u32 s27, s31, 0
	s_wait_alu 0xfffe
	s_add_nc_u64 s[26:27], s[2:3], s[26:27]
	s_wait_alu 0xfffe
	v_add_co_u32 v4, s2, s22, s26
	s_delay_alu instid0(VALU_DEP_1) | instskip(SKIP_1) | instid1(VALU_DEP_1)
	s_cmp_lg_u32 s2, 0
	s_add_co_ci_u32 s23, s23, s27
	v_readfirstlane_b32 s22, v4
	s_wait_alu 0xfffe
	s_delay_alu instid0(VALU_DEP_1)
	s_mul_u64 s[24:25], s[24:25], s[22:23]
	s_wait_alu 0xfffe
	s_mul_hi_u32 s27, s22, s25
	s_mul_i32 s26, s22, s25
	s_mul_hi_u32 s2, s22, s24
	s_mul_i32 s28, s23, s24
	s_wait_alu 0xfffe
	s_add_nc_u64 s[26:27], s[2:3], s[26:27]
	s_mul_hi_u32 s21, s23, s24
	s_mul_hi_u32 s22, s23, s25
	s_wait_alu 0xfffe
	s_add_co_u32 s2, s26, s28
	s_add_co_ci_u32 s2, s27, s21
	s_mul_i32 s24, s23, s25
	s_add_co_ci_u32 s25, s22, 0
	s_wait_alu 0xfffe
	s_add_nc_u64 s[24:25], s[2:3], s[24:25]
	s_wait_alu 0xfffe
	v_add_co_u32 v4, s2, v4, s24
	s_delay_alu instid0(VALU_DEP_1) | instskip(SKIP_1) | instid1(VALU_DEP_1)
	s_cmp_lg_u32 s2, 0
	s_add_co_ci_u32 s2, s23, s25
	v_mul_hi_u32 v14, v5, v4
	s_wait_alu 0xfffe
	v_mad_co_u64_u32 v[7:8], null, v5, s2, 0
	v_mad_co_u64_u32 v[10:11], null, v6, v4, 0
	;; [unrolled: 1-line block ×3, first 2 shown]
	s_delay_alu instid0(VALU_DEP_3) | instskip(SKIP_1) | instid1(VALU_DEP_4)
	v_add_co_u32 v4, vcc_lo, v14, v7
	s_wait_alu 0xfffd
	v_add_co_ci_u32_e32 v7, vcc_lo, 0, v8, vcc_lo
	s_delay_alu instid0(VALU_DEP_2) | instskip(SKIP_1) | instid1(VALU_DEP_2)
	v_add_co_u32 v4, vcc_lo, v4, v10
	s_wait_alu 0xfffd
	v_add_co_ci_u32_e32 v4, vcc_lo, v7, v11, vcc_lo
	s_wait_alu 0xfffd
	v_add_co_ci_u32_e32 v7, vcc_lo, 0, v13, vcc_lo
	s_delay_alu instid0(VALU_DEP_2) | instskip(SKIP_1) | instid1(VALU_DEP_2)
	v_add_co_u32 v4, vcc_lo, v4, v12
	s_wait_alu 0xfffd
	v_add_co_ci_u32_e32 v10, vcc_lo, 0, v7, vcc_lo
	s_delay_alu instid0(VALU_DEP_2) | instskip(SKIP_1) | instid1(VALU_DEP_3)
	v_mul_lo_u32 v11, s19, v4
	v_mad_co_u64_u32 v[7:8], null, s18, v4, 0
	v_mul_lo_u32 v12, s18, v10
	s_delay_alu instid0(VALU_DEP_2) | instskip(NEXT) | instid1(VALU_DEP_2)
	v_sub_co_u32 v7, vcc_lo, v5, v7
	v_add3_u32 v8, v8, v12, v11
	s_delay_alu instid0(VALU_DEP_1) | instskip(SKIP_1) | instid1(VALU_DEP_1)
	v_sub_nc_u32_e32 v11, v6, v8
	s_wait_alu 0xfffd
	v_subrev_co_ci_u32_e64 v11, s2, s19, v11, vcc_lo
	v_add_co_u32 v12, s2, v4, 2
	s_wait_alu 0xf1ff
	v_add_co_ci_u32_e64 v13, s2, 0, v10, s2
	v_sub_co_u32 v14, s2, v7, s18
	v_sub_co_ci_u32_e32 v8, vcc_lo, v6, v8, vcc_lo
	s_wait_alu 0xf1ff
	v_subrev_co_ci_u32_e64 v11, s2, 0, v11, s2
	s_delay_alu instid0(VALU_DEP_3) | instskip(NEXT) | instid1(VALU_DEP_3)
	v_cmp_le_u32_e32 vcc_lo, s18, v14
	v_cmp_eq_u32_e64 s2, s19, v8
	s_wait_alu 0xfffd
	v_cndmask_b32_e64 v14, 0, -1, vcc_lo
	v_cmp_le_u32_e32 vcc_lo, s19, v11
	s_wait_alu 0xfffd
	v_cndmask_b32_e64 v15, 0, -1, vcc_lo
	v_cmp_le_u32_e32 vcc_lo, s18, v7
	;; [unrolled: 3-line block ×3, first 2 shown]
	s_wait_alu 0xfffd
	v_cndmask_b32_e64 v16, 0, -1, vcc_lo
	v_cmp_eq_u32_e32 vcc_lo, s19, v11
	s_wait_alu 0xf1ff
	s_delay_alu instid0(VALU_DEP_2)
	v_cndmask_b32_e64 v7, v16, v7, s2
	s_wait_alu 0xfffd
	v_cndmask_b32_e32 v11, v15, v14, vcc_lo
	v_add_co_u32 v14, vcc_lo, v4, 1
	s_wait_alu 0xfffd
	v_add_co_ci_u32_e32 v15, vcc_lo, 0, v10, vcc_lo
	s_delay_alu instid0(VALU_DEP_3) | instskip(SKIP_1) | instid1(VALU_DEP_2)
	v_cmp_ne_u32_e32 vcc_lo, 0, v11
	s_wait_alu 0xfffd
	v_dual_cndmask_b32 v8, v15, v13 :: v_dual_cndmask_b32 v11, v14, v12
	v_cmp_ne_u32_e32 vcc_lo, 0, v7
	s_wait_alu 0xfffd
	s_delay_alu instid0(VALU_DEP_2)
	v_dual_cndmask_b32 v8, v10, v8 :: v_dual_cndmask_b32 v7, v4, v11
.LBB0_4:                                ;   in Loop: Header=BB0_2 Depth=1
	s_wait_alu 0xfffe
	s_and_not1_saveexec_b32 s2, s20
	s_cbranch_execz .LBB0_6
; %bb.5:                                ;   in Loop: Header=BB0_2 Depth=1
	v_cvt_f32_u32_e32 v4, s18
	s_sub_co_i32 s20, 0, s18
	s_delay_alu instid0(VALU_DEP_1) | instskip(NEXT) | instid1(TRANS32_DEP_1)
	v_rcp_iflag_f32_e32 v4, v4
	v_mul_f32_e32 v4, 0x4f7ffffe, v4
	s_delay_alu instid0(VALU_DEP_1) | instskip(SKIP_1) | instid1(VALU_DEP_1)
	v_cvt_u32_f32_e32 v4, v4
	s_wait_alu 0xfffe
	v_mul_lo_u32 v7, s20, v4
	s_delay_alu instid0(VALU_DEP_1) | instskip(NEXT) | instid1(VALU_DEP_1)
	v_mul_hi_u32 v7, v4, v7
	v_add_nc_u32_e32 v4, v4, v7
	s_delay_alu instid0(VALU_DEP_1) | instskip(NEXT) | instid1(VALU_DEP_1)
	v_mul_hi_u32 v4, v5, v4
	v_mul_lo_u32 v7, v4, s18
	v_add_nc_u32_e32 v8, 1, v4
	s_delay_alu instid0(VALU_DEP_2) | instskip(NEXT) | instid1(VALU_DEP_1)
	v_sub_nc_u32_e32 v7, v5, v7
	v_subrev_nc_u32_e32 v10, s18, v7
	v_cmp_le_u32_e32 vcc_lo, s18, v7
	s_wait_alu 0xfffd
	s_delay_alu instid0(VALU_DEP_2) | instskip(NEXT) | instid1(VALU_DEP_1)
	v_dual_cndmask_b32 v7, v7, v10 :: v_dual_cndmask_b32 v4, v4, v8
	v_cmp_le_u32_e32 vcc_lo, s18, v7
	s_delay_alu instid0(VALU_DEP_2) | instskip(SKIP_1) | instid1(VALU_DEP_1)
	v_add_nc_u32_e32 v8, 1, v4
	s_wait_alu 0xfffd
	v_dual_cndmask_b32 v7, v4, v8 :: v_dual_mov_b32 v8, v3
.LBB0_6:                                ;   in Loop: Header=BB0_2 Depth=1
	s_wait_alu 0xfffe
	s_or_b32 exec_lo, exec_lo, s2
	s_load_b64 s[20:21], s[12:13], 0x0
	s_delay_alu instid0(VALU_DEP_1)
	v_mul_lo_u32 v4, v8, s18
	v_mul_lo_u32 v12, v7, s19
	v_mad_co_u64_u32 v[10:11], null, v7, s18, 0
	s_add_nc_u64 s[14:15], s[14:15], 1
	s_add_nc_u64 s[12:13], s[12:13], 8
	s_wait_alu 0xfffe
	v_cmp_ge_u64_e64 s2, s[14:15], s[6:7]
	s_add_nc_u64 s[16:17], s[16:17], 8
	s_delay_alu instid0(VALU_DEP_2) | instskip(NEXT) | instid1(VALU_DEP_3)
	v_add3_u32 v4, v11, v12, v4
	v_sub_co_u32 v5, vcc_lo, v5, v10
	s_wait_alu 0xfffd
	s_delay_alu instid0(VALU_DEP_2) | instskip(SKIP_3) | instid1(VALU_DEP_2)
	v_sub_co_ci_u32_e32 v4, vcc_lo, v6, v4, vcc_lo
	s_and_b32 vcc_lo, exec_lo, s2
	s_wait_kmcnt 0x0
	v_mul_lo_u32 v6, s21, v5
	v_mul_lo_u32 v4, s20, v4
	v_mad_co_u64_u32 v[1:2], null, s20, v5, v[1:2]
	s_delay_alu instid0(VALU_DEP_1)
	v_add3_u32 v2, v6, v2, v4
	s_wait_alu 0xfffe
	s_cbranch_vccnz .LBB0_9
; %bb.7:                                ;   in Loop: Header=BB0_2 Depth=1
	v_dual_mov_b32 v5, v7 :: v_dual_mov_b32 v6, v8
	s_branch .LBB0_2
.LBB0_8:
	v_dual_mov_b32 v8, v6 :: v_dual_mov_b32 v7, v5
.LBB0_9:
	s_lshl_b64 s[2:3], s[6:7], 3
	v_mul_u32_u24_e32 v69, 53, v9
	s_wait_alu 0xfffe
	s_add_nc_u64 s[2:3], s[10:11], s[2:3]
	v_and_b32_e32 v64, 3, v0
	s_load_b64 s[2:3], s[2:3], 0x0
	s_load_b64 s[0:1], s[0:1], 0x20
	v_lshlrev_b32_e32 v32, 4, v69
	s_wait_kmcnt 0x0
	v_mul_lo_u32 v3, s2, v8
	v_mul_lo_u32 v4, s3, v7
	v_mad_co_u64_u32 v[1:2], null, s2, v7, v[1:2]
	v_cmp_gt_u64_e32 vcc_lo, s[0:1], v[7:8]
	s_delay_alu instid0(VALU_DEP_2) | instskip(NEXT) | instid1(VALU_DEP_1)
	v_add3_u32 v2, v4, v2, v3
	v_lshlrev_b64_e32 v[66:67], 4, v[1:2]
	s_and_saveexec_b32 s1, vcc_lo
	s_cbranch_execz .LBB0_13
; %bb.10:
	v_lshlrev_b32_e32 v2, 4, v64
	s_delay_alu instid0(VALU_DEP_2) | instskip(SKIP_3) | instid1(VALU_DEP_2)
	v_add_co_u32 v0, s0, s8, v66
	s_wait_alu 0xf1ff
	v_add_co_ci_u32_e64 v1, s0, s9, v67, s0
	s_mov_b32 s2, exec_lo
	v_add_co_u32 v53, s0, v0, v2
	s_wait_alu 0xf1ff
	s_delay_alu instid0(VALU_DEP_2)
	v_add_co_ci_u32_e64 v54, s0, 0, v1, s0
	v_add3_u32 v2, 0, v32, v2
	s_clause 0xc
	global_load_b128 v[3:6], v[53:54], off
	global_load_b128 v[7:10], v[53:54], off offset:64
	global_load_b128 v[11:14], v[53:54], off offset:128
	;; [unrolled: 1-line block ×12, first 2 shown]
	s_wait_loadcnt 0xc
	ds_store_b128 v2, v[3:6]
	s_wait_loadcnt 0xb
	ds_store_b128 v2, v[7:10] offset:64
	s_wait_loadcnt 0xa
	ds_store_b128 v2, v[11:14] offset:128
	;; [unrolled: 2-line block ×12, first 2 shown]
	v_cmpx_eq_u32_e32 3, v64
	s_cbranch_execz .LBB0_12
; %bb.11:
	global_load_b128 v[3:6], v[0:1], off offset:832
	v_mov_b32_e32 v64, 3
	s_wait_loadcnt 0x0
	ds_store_b128 v2, v[3:6] offset:784
.LBB0_12:
	s_wait_alu 0xfffe
	s_or_b32 exec_lo, exec_lo, s2
.LBB0_13:
	s_wait_alu 0xfffe
	s_or_b32 exec_lo, exec_lo, s1
	v_lshl_add_u32 v68, v69, 4, 0
	v_lshlrev_b32_e32 v11, 4, v64
	global_wb scope:SCOPE_SE
	s_wait_dscnt 0x0
	s_barrier_signal -1
	s_barrier_wait -1
	global_inv scope:SCOPE_SE
	v_add_nc_u32_e32 v33, v68, v11
	v_sub_nc_u32_e32 v10, v68, v11
	v_cmp_eq_u32_e64 s0, 0, v64
	v_cmp_ne_u32_e64 s1, 0, v64
	ds_load_b64 v[6:7], v33
	ds_load_b64 v[8:9], v10 offset:832
                                        ; implicit-def: $vgpr4_vgpr5
	s_wait_dscnt 0x0
	v_add_f64_e32 v[0:1], v[6:7], v[8:9]
	v_add_f64_e64 v[2:3], v[6:7], -v[8:9]
	s_and_saveexec_b32 s2, s1
	s_wait_alu 0xfffe
	s_xor_b32 s1, exec_lo, s2
	s_cbranch_execz .LBB0_15
; %bb.14:
	global_load_b128 v[2:5], v11, s[4:5] offset:624
	ds_load_b64 v[0:1], v10 offset:840
	ds_load_b64 v[11:12], v33 offset:8
	v_add_f64_e32 v[13:14], v[6:7], v[8:9]
	v_add_f64_e64 v[15:16], v[6:7], -v[8:9]
	v_mov_b32_e32 v65, 0
	s_wait_dscnt 0x0
	v_add_f64_e32 v[6:7], v[0:1], v[11:12]
	v_add_f64_e64 v[0:1], v[11:12], -v[0:1]
	s_wait_loadcnt 0x0
	s_delay_alu instid0(VALU_DEP_4) | instskip(SKIP_1) | instid1(VALU_DEP_3)
	v_fma_f64 v[8:9], v[15:16], v[4:5], v[13:14]
	v_fma_f64 v[11:12], -v[15:16], v[4:5], v[13:14]
	v_fma_f64 v[13:14], v[6:7], v[4:5], -v[0:1]
	v_fma_f64 v[4:5], v[6:7], v[4:5], v[0:1]
	s_delay_alu instid0(VALU_DEP_4) | instskip(NEXT) | instid1(VALU_DEP_4)
	v_fma_f64 v[0:1], -v[6:7], v[2:3], v[8:9]
	v_fma_f64 v[6:7], v[6:7], v[2:3], v[11:12]
	s_delay_alu instid0(VALU_DEP_4) | instskip(NEXT) | instid1(VALU_DEP_4)
	v_fma_f64 v[8:9], v[15:16], v[2:3], v[13:14]
	v_fma_f64 v[2:3], v[15:16], v[2:3], v[4:5]
	v_dual_mov_b32 v4, v64 :: v_dual_mov_b32 v5, v65
	ds_store_b128 v10, v[6:9] offset:832
.LBB0_15:
	s_wait_alu 0xfffe
	s_and_not1_saveexec_b32 s1, s1
	s_cbranch_execz .LBB0_17
; %bb.16:
	ds_load_b128 v[4:7], v68 offset:416
	s_wait_dscnt 0x0
	v_add_f64_e32 v[11:12], v[4:5], v[4:5]
	v_mul_f64_e32 v[13:14], -2.0, v[6:7]
	v_mov_b32_e32 v4, 0
	v_mov_b32_e32 v5, 0
	ds_store_b128 v68, v[11:14] offset:416
.LBB0_17:
	s_wait_alu 0xfffe
	s_or_b32 exec_lo, exec_lo, s1
	v_lshlrev_b64_e32 v[4:5], 4, v[4:5]
	s_add_nc_u64 s[2:3], s[4:5], 0x270
	s_wait_alu 0xfffe
	s_delay_alu instid0(VALU_DEP_1) | instskip(SKIP_1) | instid1(VALU_DEP_2)
	v_add_co_u32 v4, s1, s2, v4
	s_wait_alu 0xf1ff
	v_add_co_ci_u32_e64 v5, s1, s3, v5, s1
	s_mov_b32 s2, exec_lo
	s_clause 0x1
	global_load_b128 v[6:9], v[4:5], off offset:64
	global_load_b128 v[11:14], v[4:5], off offset:128
	ds_store_b128 v33, v[0:3]
	ds_load_b128 v[0:3], v33 offset:64
	ds_load_b128 v[15:18], v10 offset:768
	global_load_b128 v[19:22], v[4:5], off offset:192
	s_wait_dscnt 0x0
	v_add_f64_e32 v[23:24], v[0:1], v[15:16]
	v_add_f64_e32 v[25:26], v[17:18], v[2:3]
	v_add_f64_e64 v[27:28], v[0:1], -v[15:16]
	v_add_f64_e64 v[0:1], v[2:3], -v[17:18]
	s_wait_loadcnt 0x2
	s_delay_alu instid0(VALU_DEP_2) | instskip(NEXT) | instid1(VALU_DEP_2)
	v_fma_f64 v[2:3], v[27:28], v[8:9], v[23:24]
	v_fma_f64 v[15:16], v[25:26], v[8:9], v[0:1]
	v_fma_f64 v[17:18], -v[27:28], v[8:9], v[23:24]
	v_fma_f64 v[8:9], v[25:26], v[8:9], -v[0:1]
	s_delay_alu instid0(VALU_DEP_4) | instskip(NEXT) | instid1(VALU_DEP_4)
	v_fma_f64 v[0:1], -v[25:26], v[6:7], v[2:3]
	v_fma_f64 v[2:3], v[27:28], v[6:7], v[15:16]
	s_delay_alu instid0(VALU_DEP_4) | instskip(NEXT) | instid1(VALU_DEP_4)
	v_fma_f64 v[15:16], v[25:26], v[6:7], v[17:18]
	v_fma_f64 v[17:18], v[27:28], v[6:7], v[8:9]
	ds_store_b128 v33, v[0:3] offset:64
	ds_store_b128 v10, v[15:18] offset:768
	ds_load_b128 v[0:3], v33 offset:128
	ds_load_b128 v[6:9], v10 offset:704
	global_load_b128 v[15:18], v[4:5], off offset:256
	s_wait_dscnt 0x0
	v_add_f64_e32 v[23:24], v[0:1], v[6:7]
	v_add_f64_e32 v[25:26], v[8:9], v[2:3]
	v_add_f64_e64 v[27:28], v[0:1], -v[6:7]
	v_add_f64_e64 v[0:1], v[2:3], -v[8:9]
	s_wait_loadcnt 0x2
	s_delay_alu instid0(VALU_DEP_2) | instskip(NEXT) | instid1(VALU_DEP_2)
	v_fma_f64 v[2:3], v[27:28], v[13:14], v[23:24]
	v_fma_f64 v[6:7], v[25:26], v[13:14], v[0:1]
	v_fma_f64 v[8:9], -v[27:28], v[13:14], v[23:24]
	v_fma_f64 v[13:14], v[25:26], v[13:14], -v[0:1]
	s_delay_alu instid0(VALU_DEP_4) | instskip(NEXT) | instid1(VALU_DEP_4)
	v_fma_f64 v[0:1], -v[25:26], v[11:12], v[2:3]
	v_fma_f64 v[2:3], v[27:28], v[11:12], v[6:7]
	s_delay_alu instid0(VALU_DEP_4) | instskip(NEXT) | instid1(VALU_DEP_4)
	v_fma_f64 v[6:7], v[25:26], v[11:12], v[8:9]
	v_fma_f64 v[8:9], v[27:28], v[11:12], v[13:14]
	ds_store_b128 v33, v[0:3] offset:128
	ds_store_b128 v10, v[6:9] offset:704
	;; [unrolled: 22-line block ×3, first 2 shown]
	ds_load_b128 v[0:3], v33 offset:256
	ds_load_b128 v[6:9], v10 offset:576
	s_wait_dscnt 0x0
	v_add_f64_e32 v[19:20], v[0:1], v[6:7]
	v_add_f64_e32 v[21:22], v[8:9], v[2:3]
	v_add_f64_e64 v[23:24], v[0:1], -v[6:7]
	v_add_f64_e64 v[0:1], v[2:3], -v[8:9]
	s_wait_loadcnt 0x1
	s_delay_alu instid0(VALU_DEP_2) | instskip(NEXT) | instid1(VALU_DEP_2)
	v_fma_f64 v[2:3], v[23:24], v[17:18], v[19:20]
	v_fma_f64 v[6:7], v[21:22], v[17:18], v[0:1]
	v_fma_f64 v[8:9], -v[23:24], v[17:18], v[19:20]
	v_fma_f64 v[17:18], v[21:22], v[17:18], -v[0:1]
	s_delay_alu instid0(VALU_DEP_4) | instskip(NEXT) | instid1(VALU_DEP_4)
	v_fma_f64 v[0:1], -v[21:22], v[15:16], v[2:3]
	v_fma_f64 v[2:3], v[23:24], v[15:16], v[6:7]
	s_delay_alu instid0(VALU_DEP_4) | instskip(NEXT) | instid1(VALU_DEP_4)
	v_fma_f64 v[6:7], v[21:22], v[15:16], v[8:9]
	v_fma_f64 v[8:9], v[23:24], v[15:16], v[17:18]
	ds_store_b128 v33, v[0:3] offset:256
	ds_store_b128 v10, v[6:9] offset:576
	ds_load_b128 v[0:3], v33 offset:320
	ds_load_b128 v[6:9], v10 offset:512
	s_wait_dscnt 0x0
	v_add_f64_e32 v[15:16], v[0:1], v[6:7]
	v_add_f64_e32 v[17:18], v[8:9], v[2:3]
	v_add_f64_e64 v[19:20], v[0:1], -v[6:7]
	v_add_f64_e64 v[0:1], v[2:3], -v[8:9]
	s_wait_loadcnt 0x0
	s_delay_alu instid0(VALU_DEP_2) | instskip(NEXT) | instid1(VALU_DEP_2)
	v_fma_f64 v[2:3], v[19:20], v[13:14], v[15:16]
	v_fma_f64 v[6:7], v[17:18], v[13:14], v[0:1]
	v_fma_f64 v[8:9], -v[19:20], v[13:14], v[15:16]
	v_fma_f64 v[13:14], v[17:18], v[13:14], -v[0:1]
	s_delay_alu instid0(VALU_DEP_4) | instskip(NEXT) | instid1(VALU_DEP_4)
	v_fma_f64 v[0:1], -v[17:18], v[11:12], v[2:3]
	v_fma_f64 v[2:3], v[19:20], v[11:12], v[6:7]
	s_delay_alu instid0(VALU_DEP_4) | instskip(NEXT) | instid1(VALU_DEP_4)
	v_fma_f64 v[6:7], v[17:18], v[11:12], v[8:9]
	v_fma_f64 v[8:9], v[19:20], v[11:12], v[13:14]
	v_or_b32_e32 v11, 24, v64
	ds_store_b128 v33, v[0:3] offset:320
	ds_store_b128 v10, v[6:9] offset:512
	v_cmpx_gt_u32_e32 26, v11
	s_cbranch_execz .LBB0_19
; %bb.18:
	global_load_b128 v[0:3], v[4:5], off offset:384
	ds_load_b128 v[4:7], v33 offset:384
	ds_load_b128 v[11:14], v10 offset:448
	s_wait_dscnt 0x0
	v_add_f64_e32 v[8:9], v[4:5], v[11:12]
	v_add_f64_e32 v[15:16], v[13:14], v[6:7]
	v_add_f64_e64 v[11:12], v[4:5], -v[11:12]
	v_add_f64_e64 v[4:5], v[6:7], -v[13:14]
	s_wait_loadcnt 0x0
	s_delay_alu instid0(VALU_DEP_2) | instskip(NEXT) | instid1(VALU_DEP_2)
	v_fma_f64 v[6:7], v[11:12], v[2:3], v[8:9]
	v_fma_f64 v[13:14], v[15:16], v[2:3], v[4:5]
	v_fma_f64 v[8:9], -v[11:12], v[2:3], v[8:9]
	v_fma_f64 v[17:18], v[15:16], v[2:3], -v[4:5]
	s_delay_alu instid0(VALU_DEP_4) | instskip(NEXT) | instid1(VALU_DEP_4)
	v_fma_f64 v[2:3], -v[15:16], v[0:1], v[6:7]
	v_fma_f64 v[4:5], v[11:12], v[0:1], v[13:14]
	s_delay_alu instid0(VALU_DEP_4) | instskip(NEXT) | instid1(VALU_DEP_4)
	v_fma_f64 v[6:7], v[15:16], v[0:1], v[8:9]
	v_fma_f64 v[8:9], v[11:12], v[0:1], v[17:18]
	ds_store_b128 v33, v[2:5] offset:384
	ds_store_b128 v10, v[6:9] offset:448
.LBB0_19:
	s_wait_alu 0xfffe
	s_or_b32 exec_lo, exec_lo, s2
	v_lshl_add_u32 v70, v64, 4, 0
	global_wb scope:SCOPE_SE
	s_wait_dscnt 0x0
	s_barrier_signal -1
	s_barrier_wait -1
	global_inv scope:SCOPE_SE
	v_add_nc_u32_e32 v65, v70, v32
	global_wb scope:SCOPE_SE
	s_barrier_signal -1
	s_barrier_wait -1
	global_inv scope:SCOPE_SE
	ds_load_b128 v[8:11], v33
	ds_load_b128 v[12:15], v65 offset:64
	ds_load_b128 v[16:19], v65 offset:128
	;; [unrolled: 1-line block ×5, first 2 shown]
	s_mov_b32 s26, 0x42a4c3d2
	s_mov_b32 s27, 0xbfea55e2
	s_mov_b32 s28, 0x66966769
	s_mov_b32 s22, 0x2ef20147
	s_mov_b32 s29, 0xbfefc445
	s_mov_b32 s23, 0xbfedeba7
	s_mov_b32 s24, 0x24c2f84
	s_mov_b32 s20, 0x4bc48dbf
	s_mov_b32 s19, 0xbfddbe06
	s_mov_b32 s18, 0x4267c47c
	s_mov_b32 s25, 0xbfe5384d
	s_mov_b32 s21, 0xbfcea1e5
	s_mov_b32 s6, 0x1ea71119
	s_mov_b32 s7, 0x3fe22d96
	s_mov_b32 s10, 0xebaa3ed8
	s_mov_b32 s12, 0xb2365da1
	s_wait_dscnt 0x4
	v_add_f64_e32 v[0:1], v[8:9], v[12:13]
	v_add_f64_e32 v[2:3], v[10:11], v[14:15]
	s_wait_dscnt 0x1
	v_add_f64_e64 v[62:63], v[18:19], -v[6:7]
	v_add_f64_e64 v[71:72], v[16:17], -v[4:5]
	s_wait_dscnt 0x0
	v_add_f64_e64 v[75:76], v[20:21], -v[24:25]
	s_mov_b32 s2, 0xe00740e9
	s_mov_b32 s11, 0x3fbedb7d
	;; [unrolled: 1-line block ×6, first 2 shown]
	s_wait_alu 0xfffe
	s_mov_b32 s34, s24
	s_mov_b32 s3, 0x3fec55a7
	;; [unrolled: 1-line block ×4, first 2 shown]
	v_add_f64_e64 v[73:74], v[22:23], -v[26:27]
	s_mov_b32 s31, 0x3fefc445
	s_mov_b32 s30, s28
	;; [unrolled: 1-line block ×8, first 2 shown]
	v_add_f64_e32 v[28:29], v[0:1], v[16:17]
	v_add_f64_e32 v[30:31], v[2:3], v[18:19]
	ds_load_b128 v[0:3], v65 offset:768
	v_add_f64_e32 v[16:17], v[16:17], v[4:5]
	v_add_f64_e32 v[18:19], v[18:19], v[6:7]
	v_mul_f64_e32 v[117:118], s[22:23], v[62:63]
	v_mul_f64_e32 v[119:120], s[22:23], v[71:72]
	v_mul_f64_e32 v[125:126], s[20:21], v[62:63]
	v_mul_f64_e32 v[127:128], s[20:21], v[71:72]
	v_mul_f64_e32 v[133:134], s[34:35], v[62:63]
	v_mul_f64_e32 v[135:136], s[34:35], v[71:72]
	v_mul_f64_e32 v[137:138], s[30:31], v[62:63]
	v_mul_f64_e32 v[139:140], s[30:31], v[71:72]
	v_mul_f64_e32 v[145:146], s[26:27], v[62:63]
	v_mul_f64_e32 v[147:148], s[26:27], v[71:72]
	v_mul_f64_e32 v[155:156], s[24:25], v[75:76]
	v_mul_f64_e32 v[121:122], s[20:21], v[73:74]
	v_mul_f64_e32 v[123:124], s[20:21], v[75:76]
	v_mul_f64_e32 v[129:130], s[36:37], v[73:74]
	v_mul_f64_e32 v[131:132], s[36:37], v[75:76]
	v_mul_f64_e32 v[141:142], s[26:27], v[73:74]
	v_mul_f64_e32 v[149:150], s[28:29], v[73:74]
	s_wait_dscnt 0x0
	v_add_f64_e64 v[58:59], v[14:15], -v[2:3]
	v_add_f64_e64 v[60:61], v[12:13], -v[0:1]
	v_add_f64_e32 v[77:78], v[12:13], v[0:1]
	v_add_f64_e32 v[14:15], v[14:15], v[2:3]
	v_mul_f64_e32 v[151:152], s[24:25], v[73:74]
	v_mul_f64_e32 v[143:144], s[26:27], v[75:76]
	;; [unrolled: 1-line block ×3, first 2 shown]
	v_add_f64_e32 v[54:55], v[28:29], v[20:21]
	v_add_f64_e32 v[56:57], v[30:31], v[22:23]
	ds_load_b128 v[28:31], v65 offset:576
	ds_load_b128 v[34:37], v65 offset:256
	;; [unrolled: 1-line block ×6, first 2 shown]
	v_add_f64_e32 v[22:23], v[22:23], v[26:27]
	v_add_f64_e32 v[20:21], v[20:21], v[24:25]
	v_fma_f64 v[211:212], v[18:19], s[12:13], v[119:120]
	v_fma_f64 v[215:216], v[16:17], s[16:17], -v[125:126]
	v_fma_f64 v[217:218], v[18:19], s[16:17], v[127:128]
	s_wait_alu 0xfffe
	v_fma_f64 v[221:222], v[16:17], s[14:15], -v[133:134]
	v_fma_f64 v[223:224], v[18:19], s[14:15], v[135:136]
	v_fma_f64 v[225:226], v[16:17], s[10:11], -v[137:138]
	v_fma_f64 v[227:228], v[18:19], s[10:11], v[139:140]
	;; [unrolled: 2-line block ×3, first 2 shown]
	v_fma_f64 v[125:126], v[16:17], s[16:17], v[125:126]
	v_fma_f64 v[133:134], v[16:17], s[14:15], v[133:134]
	;; [unrolled: 1-line block ×3, first 2 shown]
	v_fma_f64 v[127:128], v[18:19], s[16:17], -v[127:128]
	v_fma_f64 v[233:234], v[18:19], s[6:7], v[147:148]
	v_fma_f64 v[147:148], v[18:19], s[6:7], -v[147:148]
	s_wait_dscnt 0x4
	v_add_f64_e32 v[79:80], v[34:35], v[28:29]
	v_add_f64_e32 v[81:82], v[36:37], v[30:31]
	v_add_f64_e64 v[83:84], v[34:35], -v[28:29]
	v_add_f64_e64 v[85:86], v[36:37], -v[30:31]
	v_mul_f64_e32 v[99:100], s[26:27], v[58:59]
	v_mul_f64_e32 v[109:110], s[26:27], v[60:61]
	v_mul_f64_e32 v[101:102], s[28:29], v[58:59]
	v_mul_f64_e32 v[103:104], s[22:23], v[58:59]
	v_mul_f64_e32 v[111:112], s[28:29], v[60:61]
	v_mul_f64_e32 v[105:106], s[24:25], v[58:59]
	v_mul_f64_e32 v[113:114], s[22:23], v[60:61]
	v_mul_f64_e32 v[115:116], s[24:25], v[60:61]
	v_mul_f64_e32 v[107:108], s[18:19], v[60:61]
	v_mul_f64_e32 v[60:61], s[20:21], v[60:61]
	s_wait_dscnt 0x0
	v_add_f64_e32 v[95:96], v[46:47], v[50:51]
	v_add_f64_e64 v[97:98], v[46:47], -v[50:51]
	v_add_f64_e32 v[34:35], v[54:55], v[34:35]
	v_add_f64_e32 v[36:37], v[56:57], v[36:37]
	v_mul_f64_e32 v[56:57], s[18:19], v[58:59]
	v_mul_f64_e32 v[58:59], s[20:21], v[58:59]
	v_add_f64_e32 v[12:13], v[48:49], v[52:53]
	v_add_f64_e64 v[54:55], v[48:49], -v[52:53]
	s_mov_b32 s19, 0x3fddbe06
	v_add_f64_e32 v[87:88], v[38:39], v[42:43]
	s_wait_alu 0xfffe
	v_mul_f64_e32 v[62:63], s[18:19], v[62:63]
	v_mul_f64_e32 v[71:72], s[18:19], v[71:72]
	v_mul_f64_e32 v[73:74], s[18:19], v[73:74]
	v_mul_f64_e32 v[75:76], s[18:19], v[75:76]
	v_add_f64_e32 v[89:90], v[40:41], v[44:45]
	v_add_f64_e64 v[91:92], v[38:39], -v[42:43]
	v_add_f64_e64 v[93:94], v[40:41], -v[44:45]
	v_fma_f64 v[119:120], v[18:19], s[12:13], -v[119:120]
	v_fma_f64 v[135:136], v[18:19], s[14:15], -v[135:136]
	v_fma_f64 v[139:140], v[18:19], s[10:11], -v[139:140]
	v_fma_f64 v[213:214], v[20:21], s[16:17], -v[121:122]
	v_fma_f64 v[237:238], v[22:23], s[16:17], v[123:124]
	v_fma_f64 v[219:220], v[20:21], s[12:13], -v[129:130]
	v_fma_f64 v[229:230], v[20:21], s[6:7], -v[141:142]
	v_fma_f64 v[235:236], v[20:21], s[10:11], -v[149:150]
	v_fma_f64 v[149:150], v[20:21], s[10:11], v[149:150]
	v_mul_f64_e32 v[165:166], s[34:35], v[83:84]
	v_mul_f64_e32 v[159:160], s[34:35], v[85:86]
	v_fma_f64 v[195:196], v[77:78], s[6:7], -v[99:100]
	v_fma_f64 v[203:204], v[14:15], s[6:7], v[109:110]
	v_fma_f64 v[197:198], v[77:78], s[10:11], -v[101:102]
	v_fma_f64 v[201:202], v[77:78], s[12:13], -v[103:104]
	v_fma_f64 v[99:100], v[77:78], s[6:7], v[99:100]
	v_fma_f64 v[101:102], v[77:78], s[10:11], v[101:102]
	v_fma_f64 v[103:104], v[77:78], s[12:13], v[103:104]
	v_fma_f64 v[205:206], v[77:78], s[14:15], -v[105:106]
	v_fma_f64 v[105:106], v[77:78], s[14:15], v[105:106]
	v_fma_f64 v[207:208], v[14:15], s[14:15], v[115:116]
	;; [unrolled: 1-line block ×4, first 2 shown]
	v_add_f64_e32 v[34:35], v[34:35], v[38:39]
	v_add_f64_e32 v[36:37], v[36:37], v[40:41]
	v_fma_f64 v[193:194], v[77:78], s[2:3], -v[56:57]
	v_fma_f64 v[56:57], v[77:78], s[2:3], v[56:57]
	v_fma_f64 v[107:108], v[14:15], s[2:3], -v[107:108]
	v_fma_f64 v[109:110], v[14:15], s[6:7], -v[109:110]
	;; [unrolled: 1-line block ×3, first 2 shown]
	v_mul_f64_e32 v[157:158], s[22:23], v[85:86]
	v_mul_f64_e32 v[38:39], s[28:29], v[85:86]
	;; [unrolled: 1-line block ×10, first 2 shown]
	v_fma_f64 v[121:122], v[20:21], s[16:17], v[121:122]
	v_fma_f64 v[123:124], v[22:23], s[16:17], -v[123:124]
	v_mul_f64_e32 v[175:176], s[30:31], v[93:94]
	v_mul_f64_e32 v[183:184], s[30:31], v[91:92]
	v_mul_f64_e32 v[177:178], s[26:27], v[93:94]
	v_mul_f64_e32 v[185:186], s[26:27], v[91:92]
	v_mul_f64_e32 v[179:180], s[40:41], v[93:94]
	v_mul_f64_e32 v[191:192], s[40:41], v[91:92]
	v_mul_f64_e32 v[173:174], s[24:25], v[93:94]
	v_add_f64_e32 v[195:196], v[8:9], v[195:196]
	v_add_f64_e32 v[203:204], v[10:11], v[203:204]
	;; [unrolled: 1-line block ×14, first 2 shown]
	v_fma_f64 v[46:47], v[14:15], s[10:11], v[111:112]
	v_fma_f64 v[48:49], v[77:78], s[16:17], -v[58:59]
	v_fma_f64 v[58:59], v[77:78], s[16:17], v[58:59]
	v_fma_f64 v[77:78], v[14:15], s[12:13], v[113:114]
	v_fma_f64 v[111:112], v[14:15], s[10:11], -v[111:112]
	v_fma_f64 v[113:114], v[14:15], s[12:13], -v[113:114]
	v_fma_f64 v[14:15], v[14:15], s[16:17], -v[60:61]
	v_fma_f64 v[60:61], v[16:17], s[12:13], -v[117:118]
	v_fma_f64 v[117:118], v[16:17], s[12:13], v[117:118]
	v_add_f64_e32 v[193:194], v[8:9], v[193:194]
	v_add_f64_e32 v[56:57], v[8:9], v[56:57]
	;; [unrolled: 1-line block ×5, first 2 shown]
	v_mul_f64_e32 v[181:182], s[22:23], v[93:94]
	v_mul_f64_e32 v[93:94], s[18:19], v[93:94]
	;; [unrolled: 1-line block ×4, first 2 shown]
	global_wb scope:SCOPE_SE
	s_barrier_signal -1
	s_barrier_wait -1
	global_inv scope:SCOPE_SE
	v_add_f64_e32 v[203:204], v[211:212], v[203:204]
	v_add_f64_e32 v[197:198], v[215:216], v[197:198]
	;; [unrolled: 1-line block ×3, first 2 shown]
	v_mul_f64_e32 v[221:222], s[22:23], v[91:92]
	v_add_f64_e32 v[101:102], v[125:126], v[101:102]
	v_add_f64_e32 v[103:104], v[133:134], v[103:104]
	;; [unrolled: 1-line block ×5, first 2 shown]
	v_fma_f64 v[133:134], v[81:82], s[14:15], v[165:166]
	v_add_f64_e32 v[199:200], v[233:234], v[199:200]
	v_add_f64_e32 v[34:35], v[34:35], v[50:51]
	;; [unrolled: 1-line block ×11, first 2 shown]
	v_fma_f64 v[14:15], v[22:23], s[12:13], v[131:132]
	v_fma_f64 v[50:51], v[20:21], s[12:13], v[129:130]
	v_fma_f64 v[52:53], v[20:21], s[6:7], v[141:142]
	v_fma_f64 v[129:130], v[20:21], s[14:15], -v[151:152]
	v_fma_f64 v[141:142], v[20:21], s[14:15], v[151:152]
	v_fma_f64 v[58:59], v[22:23], s[12:13], -v[131:132]
	v_fma_f64 v[131:132], v[22:23], s[6:7], v[143:144]
	v_fma_f64 v[151:152], v[22:23], s[10:11], v[153:154]
	v_fma_f64 v[153:154], v[22:23], s[10:11], -v[153:154]
	v_fma_f64 v[143:144], v[22:23], s[6:7], -v[143:144]
	v_add_f64_e32 v[193:194], v[231:232], v[193:194]
	v_add_f64_e32 v[107:108], v[147:148], v[107:108]
	;; [unrolled: 1-line block ×6, first 2 shown]
	v_fma_f64 v[145:146], v[79:80], s[14:15], -v[159:160]
	v_add_f64_e32 v[203:204], v[237:238], v[203:204]
	v_add_f64_e32 v[197:198], v[219:220], v[197:198]
	v_fma_f64 v[147:148], v[79:80], s[10:11], -v[38:39]
	v_fma_f64 v[117:118], v[79:80], s[16:17], -v[40:41]
	v_fma_f64 v[137:138], v[81:82], s[16:17], v[169:170]
	v_fma_f64 v[38:39], v[79:80], s[10:11], v[38:39]
	v_add_f64_e32 v[205:206], v[229:230], v[205:206]
	v_fma_f64 v[40:41], v[79:80], s[16:17], v[40:41]
	v_fma_f64 v[125:126], v[79:80], s[6:7], -v[161:162]
	v_fma_f64 v[165:166], v[81:82], s[14:15], -v[165:166]
	;; [unrolled: 1-line block ×3, first 2 shown]
	v_add_f64_e32 v[34:35], v[34:35], v[42:43]
	v_add_f64_e32 v[36:37], v[36:37], v[44:45]
	v_fma_f64 v[42:43], v[22:23], s[14:15], v[155:156]
	v_fma_f64 v[44:45], v[22:23], s[14:15], -v[155:156]
	v_fma_f64 v[155:156], v[16:17], s[2:3], -v[62:63]
	v_fma_f64 v[16:17], v[16:17], s[2:3], v[62:63]
	v_fma_f64 v[62:63], v[18:19], s[2:3], v[71:72]
	v_fma_f64 v[18:19], v[18:19], s[2:3], -v[71:72]
	v_fma_f64 v[71:72], v[20:21], s[2:3], -v[73:74]
	v_add_f64_e32 v[46:47], v[217:218], v[46:47]
	v_fma_f64 v[20:21], v[20:21], s[2:3], v[73:74]
	v_fma_f64 v[73:74], v[22:23], s[2:3], v[75:76]
	v_add_f64_e32 v[77:78], v[223:224], v[77:78]
	v_add_f64_e32 v[111:112], v[127:128], v[111:112]
	v_fma_f64 v[22:23], v[22:23], s[2:3], -v[75:76]
	v_add_f64_e32 v[113:114], v[135:136], v[113:114]
	v_add_f64_e32 v[60:61], v[213:214], v[60:61]
	v_fma_f64 v[135:136], v[81:82], s[10:11], v[167:168]
	v_mul_f64_e32 v[217:218], s[24:25], v[91:92]
	v_mul_f64_e32 v[91:92], s[18:19], v[91:92]
	v_add_f64_e32 v[131:132], v[131:132], v[207:208]
	v_fma_f64 v[127:128], v[81:82], s[12:13], v[163:164]
	v_fma_f64 v[163:164], v[81:82], s[12:13], -v[163:164]
	v_fma_f64 v[167:168], v[81:82], s[10:11], -v[167:168]
	v_fma_f64 v[139:140], v[81:82], s[6:7], v[171:172]
	v_fma_f64 v[171:172], v[81:82], s[6:7], -v[171:172]
	v_add_f64_e32 v[52:53], v[52:53], v[105:106]
	v_fma_f64 v[233:234], v[79:80], s[12:13], -v[157:158]
	v_fma_f64 v[157:158], v[79:80], s[12:13], v[157:158]
	v_fma_f64 v[159:160], v[79:80], s[14:15], v[159:160]
	;; [unrolled: 1-line block ×3, first 2 shown]
	v_add_f64_e32 v[50:51], v[50:51], v[101:102]
	v_add_f64_e32 v[101:102], v[143:144], v[115:116]
	;; [unrolled: 1-line block ×6, first 2 shown]
	v_mul_f64_e32 v[75:76], s[38:39], v[54:55]
	v_add_f64_e32 v[28:29], v[34:35], v[28:29]
	v_add_f64_e32 v[30:31], v[36:37], v[30:31]
	v_mul_f64_e32 v[195:196], s[38:39], v[97:98]
	v_mul_f64_e32 v[211:212], s[22:23], v[54:55]
	v_add_f64_e32 v[48:49], v[155:156], v[48:49]
	v_add_f64_e32 v[8:9], v[16:17], v[8:9]
	;; [unrolled: 1-line block ×6, first 2 shown]
	v_fma_f64 v[46:47], v[79:80], s[2:3], -v[85:86]
	v_fma_f64 v[201:202], v[81:82], s[2:3], v[83:84]
	v_add_f64_e32 v[73:74], v[73:74], v[77:78]
	v_fma_f64 v[81:82], v[81:82], s[2:3], -v[83:84]
	v_add_f64_e32 v[58:59], v[58:59], v[111:112]
	v_add_f64_e32 v[20:21], v[20:21], v[103:104]
	v_fma_f64 v[79:80], v[79:80], s[2:3], v[85:86]
	v_add_f64_e32 v[83:84], v[235:236], v[193:194]
	v_add_f64_e32 v[85:86], v[153:154], v[107:108]
	;; [unrolled: 1-line block ×3, first 2 shown]
	v_mul_f64_e32 v[215:216], s[22:23], v[97:98]
	v_mul_f64_e32 v[223:224], s[20:21], v[54:55]
	;; [unrolled: 1-line block ×7, first 2 shown]
	v_fma_f64 v[209:210], v[87:88], s[10:11], -v[175:176]
	v_fma_f64 v[213:214], v[89:90], s[10:11], v[183:184]
	v_add_f64_e32 v[36:37], v[145:146], v[60:61]
	v_add_f64_e32 v[60:61], v[133:134], v[203:204]
	v_fma_f64 v[16:17], v[87:88], s[6:7], -v[177:178]
	v_fma_f64 v[237:238], v[89:90], s[6:7], v[185:186]
	v_fma_f64 v[18:19], v[87:88], s[16:17], -v[179:180]
	v_fma_f64 v[34:35], v[89:90], s[16:17], v[191:192]
	;; [unrolled: 2-line block ×3, first 2 shown]
	v_add_f64_e32 v[117:118], v[117:118], v[205:206]
	v_add_f64_e32 v[123:124], v[137:138], v[131:132]
	v_fma_f64 v[155:156], v[87:88], s[14:15], -v[173:174]
	v_fma_f64 v[173:174], v[87:88], s[14:15], v[173:174]
	v_fma_f64 v[175:176], v[87:88], s[10:11], v[175:176]
	v_add_f64_e32 v[48:49], v[129:130], v[48:49]
	v_add_f64_e32 v[8:9], v[141:142], v[8:9]
	;; [unrolled: 1-line block ×5, first 2 shown]
	v_fma_f64 v[177:178], v[87:88], s[6:7], v[177:178]
	v_add_f64_e32 v[46:47], v[46:47], v[197:198]
	v_add_f64_e32 v[14:15], v[201:202], v[14:15]
	;; [unrolled: 1-line block ×3, first 2 shown]
	v_fma_f64 v[179:180], v[87:88], s[16:17], v[179:180]
	v_fma_f64 v[119:120], v[87:88], s[12:13], -v[181:182]
	v_fma_f64 v[181:182], v[87:88], s[12:13], v[181:182]
	v_fma_f64 v[107:108], v[89:90], s[6:7], -v[185:186]
	v_add_f64_e32 v[24:25], v[28:29], v[24:25]
	v_fma_f64 v[28:29], v[89:90], s[12:13], v[221:222]
	v_fma_f64 v[87:88], v[87:88], s[2:3], v[93:94]
	v_add_f64_e32 v[58:59], v[81:82], v[58:59]
	v_add_f64_e32 v[20:21], v[38:39], v[20:21]
	;; [unrolled: 1-line block ×3, first 2 shown]
	v_fma_f64 v[105:106], v[89:90], s[14:15], -v[217:218]
	v_fma_f64 v[129:130], v[89:90], s[12:13], -v[221:222]
	;; [unrolled: 1-line block ×3, first 2 shown]
	v_add_f64_e32 v[83:84], v[233:234], v[83:84]
	v_add_f64_e32 v[85:86], v[163:164], v[85:86]
	;; [unrolled: 1-line block ×3, first 2 shown]
	v_fma_f64 v[111:112], v[89:90], s[16:17], -v[191:192]
	v_add_f64_e32 v[93:94], v[159:160], v[99:100]
	v_add_f64_e32 v[22:23], v[167:168], v[22:23]
	;; [unrolled: 1-line block ×3, first 2 shown]
	v_fma_f64 v[79:80], v[89:90], s[10:11], -v[183:184]
	v_add_f64_e32 v[101:102], v[165:166], v[109:110]
	v_add_f64_e32 v[56:57], v[157:158], v[56:57]
	v_fma_f64 v[52:53], v[89:90], s[14:15], v[217:218]
	v_add_f64_e32 v[115:116], v[127:128], v[115:116]
	v_add_f64_e32 v[26:27], v[30:31], v[26:27]
	v_fma_f64 v[109:110], v[95:96], s[2:3], -v[54:55]
	v_add_f64_e32 v[30:31], v[209:210], v[36:37]
	v_add_f64_e32 v[36:37], v[213:214], v[60:61]
	;; [unrolled: 1-line block ×6, first 2 shown]
	v_fma_f64 v[125:126], v[12:13], s[2:3], v[97:98]
	v_fma_f64 v[219:220], v[95:96], s[14:15], -v[187:188]
	v_fma_f64 v[77:78], v[12:13], s[14:15], v[189:190]
	v_add_f64_e32 v[16:17], v[16:17], v[46:47]
	v_add_f64_e32 v[14:15], v[237:238], v[14:15]
	v_fma_f64 v[207:208], v[95:96], s[6:7], -v[75:76]
	v_fma_f64 v[44:45], v[12:13], s[6:7], v[195:196]
	v_add_f64_e32 v[18:19], v[18:19], v[71:72]
	v_add_f64_e32 v[34:35], v[34:35], v[73:74]
	;; [unrolled: 4-line block ×3, first 2 shown]
	v_fma_f64 v[73:74], v[95:96], s[10:11], -v[225:226]
	v_add_f64_e32 v[58:59], v[107:108], v[58:59]
	v_add_f64_e32 v[38:39], v[87:88], v[38:39]
	v_fma_f64 v[107:108], v[12:13], s[10:11], v[227:228]
	v_add_f64_e32 v[4:5], v[24:25], v[4:5]
	v_fma_f64 v[113:114], v[95:96], s[10:11], v[225:226]
	v_fma_f64 v[24:25], v[95:96], s[2:3], v[54:55]
	v_add_f64_e32 v[54:55], v[155:156], v[83:84]
	v_add_f64_e32 v[83:84], v[105:106], v[85:86]
	;; [unrolled: 1-line block ×3, first 2 shown]
	v_fma_f64 v[117:118], v[12:13], s[10:11], -v[227:228]
	v_fma_f64 v[71:72], v[95:96], s[12:13], v[211:212]
	v_fma_f64 v[81:82], v[95:96], s[16:17], -v[223:224]
	v_fma_f64 v[89:90], v[95:96], s[16:17], v[223:224]
	v_fma_f64 v[99:100], v[95:96], s[14:15], v[187:188]
	;; [unrolled: 1-line block ×3, first 2 shown]
	v_add_f64_e32 v[85:86], v[175:176], v[93:94]
	v_add_f64_e32 v[93:94], v[179:180], v[20:21]
	;; [unrolled: 1-line block ×3, first 2 shown]
	v_fma_f64 v[121:122], v[12:13], s[6:7], -v[195:196]
	v_add_f64_e32 v[50:51], v[177:178], v[50:51]
	v_add_f64_e32 v[48:49], v[119:120], v[48:49]
	;; [unrolled: 1-line block ×5, first 2 shown]
	v_fma_f64 v[119:120], v[12:13], s[12:13], -v[215:216]
	v_fma_f64 v[111:112], v[12:13], s[14:15], -v[189:190]
	;; [unrolled: 1-line block ×3, first 2 shown]
	v_add_f64_e32 v[79:80], v[79:80], v[101:102]
	v_add_f64_e32 v[56:57], v[173:174], v[56:57]
	v_fma_f64 v[101:102], v[12:13], s[16:17], -v[231:232]
	v_add_f64_e32 v[52:53], v[52:53], v[115:116]
	v_fma_f64 v[115:116], v[12:13], s[16:17], v[231:232]
	v_add_f64_e32 v[123:124], v[26:27], v[6:7]
	v_add_f64_e32 v[8:9], v[109:110], v[30:31]
	;; [unrolled: 1-line block ×25, first 2 shown]
	v_mul_u32_u24_e32 v54, 0xd0, v64
	v_add_f64_e32 v[52:53], v[115:116], v[52:53]
	v_add_f64_e32 v[2:3], v[123:124], v[2:3]
	s_delay_alu instid0(VALU_DEP_3)
	v_add3_u32 v32, 0, v54, v32
	ds_store_b128 v32, v[8:11] offset:32
	ds_store_b128 v32, v[12:15] offset:48
	ds_store_b128 v32, v[16:19] offset:64
	ds_store_b128 v32, v[20:23] offset:80
	ds_store_b128 v32, v[42:45] offset:96
	ds_store_b128 v32, v[46:49] offset:112
	ds_store_b128 v32, v[38:41] offset:128
	ds_store_b128 v32, v[34:37] offset:144
	ds_store_b128 v32, v[28:31] offset:160
	ds_store_b128 v32, v[24:27] offset:176
	ds_store_b128 v32, v[4:7] offset:192
	ds_store_b128 v32, v[50:53] offset:16
	ds_store_b128 v32, v[0:3]
	global_wb scope:SCOPE_SE
	s_wait_dscnt 0x0
	s_barrier_signal -1
	s_barrier_wait -1
	global_inv scope:SCOPE_SE
	ds_load_b128 v[16:19], v33
	ds_load_b128 v[20:23], v65 offset:64
	ds_load_b128 v[44:47], v65 offset:416
	;; [unrolled: 1-line block ×11, first 2 shown]
                                        ; implicit-def: $vgpr2_vgpr3
                                        ; implicit-def: $vgpr10_vgpr11
                                        ; implicit-def: $vgpr14_vgpr15
	s_and_saveexec_b32 s1, s0
	s_cbranch_execz .LBB0_21
; %bb.20:
	ds_load_b128 v[4:7], v68 offset:192
	ds_load_b128 v[0:3], v68 offset:400
	;; [unrolled: 1-line block ×4, first 2 shown]
.LBB0_21:
	s_wait_alu 0xfffe
	s_or_b32 exec_lo, exec_lo, s1
	v_mul_u32_u24_e32 v71, 3, v64
	v_lshl_add_u32 v69, v69, 4, v70
	s_delay_alu instid0(VALU_DEP_2)
	v_lshlrev_b32_e32 v104, 4, v71
	s_clause 0x8
	global_load_b128 v[72:75], v104, s[4:5]
	global_load_b128 v[76:79], v104, s[4:5] offset:16
	global_load_b128 v[80:83], v104, s[4:5] offset:32
	;; [unrolled: 1-line block ×8, first 2 shown]
	global_wb scope:SCOPE_SE
	s_wait_loadcnt_dscnt 0x0
	s_barrier_signal -1
	s_barrier_wait -1
	global_inv scope:SCOPE_SE
	v_mul_f64_e32 v[108:109], v[58:59], v[74:75]
	v_mul_f64_e32 v[74:75], v[56:57], v[74:75]
	;; [unrolled: 1-line block ×18, first 2 shown]
	v_fma_f64 v[56:57], v[56:57], v[72:73], -v[108:109]
	v_fma_f64 v[58:59], v[58:59], v[72:73], v[74:75]
	v_fma_f64 v[44:45], v[44:45], v[76:77], -v[110:111]
	v_fma_f64 v[46:47], v[46:47], v[76:77], v[78:79]
	;; [unrolled: 2-line block ×9, first 2 shown]
	v_add_f64_e64 v[44:45], v[16:17], -v[44:45]
	v_add_f64_e64 v[46:47], v[18:19], -v[46:47]
	;; [unrolled: 1-line block ×12, first 2 shown]
	v_fma_f64 v[76:77], v[16:17], 2.0, -v[44:45]
	v_fma_f64 v[78:79], v[18:19], 2.0, -v[46:47]
	v_fma_f64 v[40:41], v[56:57], 2.0, -v[60:61]
	v_fma_f64 v[42:43], v[58:59], 2.0, -v[62:63]
	v_add_f64_e64 v[16:17], v[44:45], -v[62:63]
	v_add_f64_e32 v[18:19], v[46:47], v[60:61]
	v_fma_f64 v[56:57], v[20:21], 2.0, -v[72:73]
	v_fma_f64 v[58:59], v[22:23], 2.0, -v[74:75]
	v_fma_f64 v[48:49], v[48:49], 2.0, -v[28:29]
	v_fma_f64 v[50:51], v[50:51], 2.0, -v[30:31]
	v_add_f64_e64 v[20:21], v[72:73], -v[30:31]
	v_add_f64_e32 v[22:23], v[74:75], v[28:29]
	;; [unrolled: 6-line block ×3, first 2 shown]
	v_add_f64_e64 v[28:29], v[76:77], -v[40:41]
	v_add_f64_e64 v[30:31], v[78:79], -v[42:43]
	v_fma_f64 v[40:41], v[44:45], 2.0, -v[16:17]
	v_fma_f64 v[42:43], v[46:47], 2.0, -v[18:19]
	v_add_f64_e64 v[32:33], v[56:57], -v[48:49]
	v_add_f64_e64 v[34:35], v[58:59], -v[50:51]
	v_fma_f64 v[44:45], v[72:73], 2.0, -v[20:21]
	v_fma_f64 v[46:47], v[74:75], 2.0, -v[22:23]
	;; [unrolled: 4-line block ×3, first 2 shown]
	v_fma_f64 v[52:53], v[76:77], 2.0, -v[28:29]
	v_fma_f64 v[54:55], v[78:79], 2.0, -v[30:31]
	;; [unrolled: 1-line block ×6, first 2 shown]
	ds_store_b128 v65, v[28:31] offset:416
	ds_store_b128 v65, v[16:19] offset:624
	ds_store_b128 v69, v[44:47] offset:272
	ds_store_b128 v69, v[48:51] offset:336
	ds_store_b128 v69, v[32:35] offset:480
	ds_store_b128 v69, v[36:39] offset:544
	ds_store_b128 v65, v[52:55]
	ds_store_b128 v65, v[56:59] offset:64
	ds_store_b128 v65, v[40:43] offset:208
	;; [unrolled: 1-line block ×5, first 2 shown]
	s_and_saveexec_b32 s1, s0
	s_cbranch_execz .LBB0_23
; %bb.22:
	v_dual_mov_b32 v17, 0 :: v_dual_add_nc_u32 v16, -3, v71
	s_delay_alu instid0(VALU_DEP_1) | instskip(NEXT) | instid1(VALU_DEP_1)
	v_cndmask_b32_e64 v16, v16, 36, s0
	v_lshlrev_b64_e32 v[16:17], 4, v[16:17]
	s_delay_alu instid0(VALU_DEP_1) | instskip(SKIP_1) | instid1(VALU_DEP_2)
	v_add_co_u32 v24, s0, s4, v16
	s_wait_alu 0xf1ff
	v_add_co_ci_u32_e64 v25, s0, s5, v17, s0
	s_clause 0x2
	global_load_b128 v[16:19], v[24:25], off offset:16
	global_load_b128 v[20:23], v[24:25], off
	global_load_b128 v[24:27], v[24:25], off offset:32
	s_wait_loadcnt 0x2
	v_mul_f64_e32 v[28:29], v[8:9], v[18:19]
	s_wait_loadcnt 0x1
	v_mul_f64_e32 v[30:31], v[2:3], v[22:23]
	v_mul_f64_e32 v[22:23], v[0:1], v[22:23]
	s_wait_loadcnt 0x0
	v_mul_f64_e32 v[32:33], v[12:13], v[26:27]
	v_mul_f64_e32 v[18:19], v[10:11], v[18:19]
	;; [unrolled: 1-line block ×3, first 2 shown]
	v_fma_f64 v[10:11], v[10:11], v[16:17], v[28:29]
	v_fma_f64 v[0:1], v[0:1], v[20:21], -v[30:31]
	v_fma_f64 v[2:3], v[2:3], v[20:21], v[22:23]
	v_fma_f64 v[14:15], v[14:15], v[24:25], v[32:33]
	v_fma_f64 v[8:9], v[8:9], v[16:17], -v[18:19]
	v_fma_f64 v[12:13], v[12:13], v[24:25], -v[26:27]
	v_add_f64_e64 v[10:11], v[6:7], -v[10:11]
	s_delay_alu instid0(VALU_DEP_4) | instskip(NEXT) | instid1(VALU_DEP_4)
	v_add_f64_e64 v[14:15], v[2:3], -v[14:15]
	v_add_f64_e64 v[8:9], v[4:5], -v[8:9]
	s_delay_alu instid0(VALU_DEP_4) | instskip(NEXT) | instid1(VALU_DEP_4)
	v_add_f64_e64 v[12:13], v[0:1], -v[12:13]
	v_fma_f64 v[16:17], v[6:7], 2.0, -v[10:11]
	s_delay_alu instid0(VALU_DEP_4) | instskip(NEXT) | instid1(VALU_DEP_4)
	v_fma_f64 v[6:7], v[2:3], 2.0, -v[14:15]
	v_fma_f64 v[18:19], v[4:5], 2.0, -v[8:9]
	s_delay_alu instid0(VALU_DEP_4) | instskip(SKIP_1) | instid1(VALU_DEP_4)
	v_fma_f64 v[0:1], v[0:1], 2.0, -v[12:13]
	v_add_f64_e32 v[2:3], v[10:11], v[12:13]
	v_add_f64_e64 v[6:7], v[16:17], -v[6:7]
	s_delay_alu instid0(VALU_DEP_3) | instskip(SKIP_1) | instid1(VALU_DEP_4)
	v_add_f64_e64 v[4:5], v[18:19], -v[0:1]
	v_add_f64_e64 v[0:1], v[8:9], -v[14:15]
	v_fma_f64 v[10:11], v[10:11], 2.0, -v[2:3]
	s_delay_alu instid0(VALU_DEP_4) | instskip(NEXT) | instid1(VALU_DEP_4)
	v_fma_f64 v[14:15], v[16:17], 2.0, -v[6:7]
	v_fma_f64 v[12:13], v[18:19], 2.0, -v[4:5]
	s_delay_alu instid0(VALU_DEP_4)
	v_fma_f64 v[8:9], v[8:9], 2.0, -v[0:1]
	ds_store_b128 v68, v[12:15] offset:192
	ds_store_b128 v68, v[8:11] offset:400
	;; [unrolled: 1-line block ×4, first 2 shown]
.LBB0_23:
	s_wait_alu 0xfffe
	s_or_b32 exec_lo, exec_lo, s1
	global_wb scope:SCOPE_SE
	s_wait_dscnt 0x0
	s_barrier_signal -1
	s_barrier_wait -1
	global_inv scope:SCOPE_SE
	s_and_saveexec_b32 s0, vcc_lo
	s_cbranch_execz .LBB0_25
; %bb.24:
	v_dual_mov_b32 v65, 0 :: v_dual_add_nc_u32 v8, 4, v64
	v_add_co_u32 v30, vcc_lo, s8, v66
	v_lshl_add_u32 v28, v64, 4, v68
	s_delay_alu instid0(VALU_DEP_3) | instskip(SKIP_4) | instid1(VALU_DEP_4)
	v_lshlrev_b64_e32 v[0:1], 4, v[64:65]
	s_wait_alu 0xfffd
	v_add_co_ci_u32_e32 v31, vcc_lo, s9, v67, vcc_lo
	v_dual_mov_b32 v9, v65 :: v_dual_add_nc_u32 v10, 8, v64
	v_dual_mov_b32 v11, v65 :: v_dual_add_nc_u32 v22, 12, v64
	v_add_co_u32 v16, vcc_lo, v30, v0
	s_wait_alu 0xfffd
	v_add_co_ci_u32_e32 v17, vcc_lo, v31, v1, vcc_lo
	ds_load_b128 v[0:3], v28
	ds_load_b128 v[4:7], v28 offset:64
	v_lshlrev_b64_e32 v[18:19], 4, v[8:9]
	v_lshlrev_b64_e32 v[20:21], 4, v[10:11]
	ds_load_b128 v[8:11], v28 offset:128
	ds_load_b128 v[12:15], v28 offset:192
	v_dual_mov_b32 v23, v65 :: v_dual_add_nc_u32 v24, 16, v64
	v_mov_b32_e32 v25, v65
	v_add_co_u32 v18, vcc_lo, v30, v18
	s_delay_alu instid0(VALU_DEP_3)
	v_lshlrev_b64_e32 v[22:23], 4, v[22:23]
	s_wait_alu 0xfffd
	v_add_co_ci_u32_e32 v19, vcc_lo, v31, v19, vcc_lo
	v_add_co_u32 v20, vcc_lo, v30, v20
	s_wait_alu 0xfffd
	v_add_co_ci_u32_e32 v21, vcc_lo, v31, v21, vcc_lo
	v_add_co_u32 v22, vcc_lo, v30, v22
	s_wait_alu 0xfffd
	v_add_co_ci_u32_e32 v23, vcc_lo, v31, v23, vcc_lo
	s_wait_dscnt 0x3
	global_store_b128 v[16:17], v[0:3], off
	s_wait_dscnt 0x2
	global_store_b128 v[18:19], v[4:7], off
	;; [unrolled: 2-line block ×4, first 2 shown]
	v_add_nc_u32_e32 v8, 20, v64
	v_lshlrev_b64_e32 v[0:1], 4, v[24:25]
	v_dual_mov_b32 v9, v65 :: v_dual_add_nc_u32 v10, 24, v64
	v_dual_mov_b32 v11, v65 :: v_dual_add_nc_u32 v22, 28, v64
	;; [unrolled: 1-line block ×3, first 2 shown]
	s_delay_alu instid0(VALU_DEP_4)
	v_add_co_u32 v16, vcc_lo, v30, v0
	s_wait_alu 0xfffd
	v_add_co_ci_u32_e32 v17, vcc_lo, v31, v1, vcc_lo
	ds_load_b128 v[0:3], v28 offset:256
	ds_load_b128 v[4:7], v28 offset:320
	v_lshlrev_b64_e32 v[18:19], 4, v[8:9]
	v_lshlrev_b64_e32 v[20:21], 4, v[10:11]
	ds_load_b128 v[8:11], v28 offset:384
	ds_load_b128 v[12:15], v28 offset:448
	v_lshlrev_b64_e32 v[22:23], 4, v[22:23]
	v_add_co_u32 v18, vcc_lo, v30, v18
	s_wait_alu 0xfffd
	v_add_co_ci_u32_e32 v19, vcc_lo, v31, v19, vcc_lo
	v_add_co_u32 v20, vcc_lo, v30, v20
	s_wait_alu 0xfffd
	v_add_co_ci_u32_e32 v21, vcc_lo, v31, v21, vcc_lo
	v_add_co_u32 v22, vcc_lo, v30, v22
	s_wait_dscnt 0x3
	global_store_b128 v[16:17], v[0:3], off
	s_wait_dscnt 0x2
	global_store_b128 v[18:19], v[4:7], off
	v_dual_mov_b32 v3, v65 :: v_dual_add_nc_u32 v2, 36, v64
	s_wait_alu 0xfffd
	v_add_co_ci_u32_e32 v23, vcc_lo, v31, v23, vcc_lo
	v_lshlrev_b64_e32 v[0:1], 4, v[24:25]
	s_wait_dscnt 0x1
	global_store_b128 v[20:21], v[8:11], off
	s_wait_dscnt 0x0
	global_store_b128 v[22:23], v[12:15], off
	v_lshlrev_b64_e32 v[8:9], 4, v[2:3]
	v_dual_mov_b32 v11, v65 :: v_dual_add_nc_u32 v10, 40, v64
	v_add_co_u32 v20, vcc_lo, v30, v0
	s_wait_alu 0xfffd
	v_add_co_ci_u32_e32 v21, vcc_lo, v31, v1, vcc_lo
	s_delay_alu instid0(VALU_DEP_4)
	v_add_co_u32 v22, vcc_lo, v30, v8
	ds_load_b128 v[0:3], v28 offset:512
	ds_load_b128 v[4:7], v28 offset:576
	s_wait_alu 0xfffd
	v_add_co_ci_u32_e32 v23, vcc_lo, v31, v9, vcc_lo
	v_lshlrev_b64_e32 v[26:27], 4, v[10:11]
	ds_load_b128 v[8:11], v28 offset:640
	ds_load_b128 v[12:15], v28 offset:704
	;; [unrolled: 1-line block ×3, first 2 shown]
	v_add_nc_u32_e32 v24, 44, v64
	v_add_nc_u32_e32 v64, 48, v64
	v_add_co_u32 v26, vcc_lo, v30, v26
	s_delay_alu instid0(VALU_DEP_3) | instskip(NEXT) | instid1(VALU_DEP_3)
	v_lshlrev_b64_e32 v[24:25], 4, v[24:25]
	v_lshlrev_b64_e32 v[28:29], 4, v[64:65]
	s_wait_alu 0xfffd
	v_add_co_ci_u32_e32 v27, vcc_lo, v31, v27, vcc_lo
	s_delay_alu instid0(VALU_DEP_3)
	v_add_co_u32 v24, vcc_lo, v30, v24
	s_wait_alu 0xfffd
	v_add_co_ci_u32_e32 v25, vcc_lo, v31, v25, vcc_lo
	v_add_co_u32 v28, vcc_lo, v30, v28
	s_wait_alu 0xfffd
	v_add_co_ci_u32_e32 v29, vcc_lo, v31, v29, vcc_lo
	s_wait_dscnt 0x4
	global_store_b128 v[20:21], v[0:3], off
	s_wait_dscnt 0x3
	global_store_b128 v[22:23], v[4:7], off
	;; [unrolled: 2-line block ×5, first 2 shown]
.LBB0_25:
	s_nop 0
	s_sendmsg sendmsg(MSG_DEALLOC_VGPRS)
	s_endpgm
	.section	.rodata,"a",@progbits
	.p2align	6, 0x0
	.amdhsa_kernel fft_rtc_fwd_len52_factors_13_4_wgs_64_tpt_4_halfLds_dp_ip_CI_unitstride_sbrr_C2R_dirReg
		.amdhsa_group_segment_fixed_size 0
		.amdhsa_private_segment_fixed_size 0
		.amdhsa_kernarg_size 88
		.amdhsa_user_sgpr_count 2
		.amdhsa_user_sgpr_dispatch_ptr 0
		.amdhsa_user_sgpr_queue_ptr 0
		.amdhsa_user_sgpr_kernarg_segment_ptr 1
		.amdhsa_user_sgpr_dispatch_id 0
		.amdhsa_user_sgpr_private_segment_size 0
		.amdhsa_wavefront_size32 1
		.amdhsa_uses_dynamic_stack 0
		.amdhsa_enable_private_segment 0
		.amdhsa_system_sgpr_workgroup_id_x 1
		.amdhsa_system_sgpr_workgroup_id_y 0
		.amdhsa_system_sgpr_workgroup_id_z 0
		.amdhsa_system_sgpr_workgroup_info 0
		.amdhsa_system_vgpr_workitem_id 0
		.amdhsa_next_free_vgpr 239
		.amdhsa_next_free_sgpr 42
		.amdhsa_reserve_vcc 1
		.amdhsa_float_round_mode_32 0
		.amdhsa_float_round_mode_16_64 0
		.amdhsa_float_denorm_mode_32 3
		.amdhsa_float_denorm_mode_16_64 3
		.amdhsa_fp16_overflow 0
		.amdhsa_workgroup_processor_mode 1
		.amdhsa_memory_ordered 1
		.amdhsa_forward_progress 0
		.amdhsa_round_robin_scheduling 0
		.amdhsa_exception_fp_ieee_invalid_op 0
		.amdhsa_exception_fp_denorm_src 0
		.amdhsa_exception_fp_ieee_div_zero 0
		.amdhsa_exception_fp_ieee_overflow 0
		.amdhsa_exception_fp_ieee_underflow 0
		.amdhsa_exception_fp_ieee_inexact 0
		.amdhsa_exception_int_div_zero 0
	.end_amdhsa_kernel
	.text
.Lfunc_end0:
	.size	fft_rtc_fwd_len52_factors_13_4_wgs_64_tpt_4_halfLds_dp_ip_CI_unitstride_sbrr_C2R_dirReg, .Lfunc_end0-fft_rtc_fwd_len52_factors_13_4_wgs_64_tpt_4_halfLds_dp_ip_CI_unitstride_sbrr_C2R_dirReg
                                        ; -- End function
	.section	.AMDGPU.csdata,"",@progbits
; Kernel info:
; codeLenInByte = 8072
; NumSgprs: 44
; NumVgprs: 239
; ScratchSize: 0
; MemoryBound: 0
; FloatMode: 240
; IeeeMode: 1
; LDSByteSize: 0 bytes/workgroup (compile time only)
; SGPRBlocks: 5
; VGPRBlocks: 29
; NumSGPRsForWavesPerEU: 44
; NumVGPRsForWavesPerEU: 239
; Occupancy: 6
; WaveLimiterHint : 1
; COMPUTE_PGM_RSRC2:SCRATCH_EN: 0
; COMPUTE_PGM_RSRC2:USER_SGPR: 2
; COMPUTE_PGM_RSRC2:TRAP_HANDLER: 0
; COMPUTE_PGM_RSRC2:TGID_X_EN: 1
; COMPUTE_PGM_RSRC2:TGID_Y_EN: 0
; COMPUTE_PGM_RSRC2:TGID_Z_EN: 0
; COMPUTE_PGM_RSRC2:TIDIG_COMP_CNT: 0
	.text
	.p2alignl 7, 3214868480
	.fill 96, 4, 3214868480
	.type	__hip_cuid_b80f09cf0f0a9f47,@object ; @__hip_cuid_b80f09cf0f0a9f47
	.section	.bss,"aw",@nobits
	.globl	__hip_cuid_b80f09cf0f0a9f47
__hip_cuid_b80f09cf0f0a9f47:
	.byte	0                               ; 0x0
	.size	__hip_cuid_b80f09cf0f0a9f47, 1

	.ident	"AMD clang version 19.0.0git (https://github.com/RadeonOpenCompute/llvm-project roc-6.4.0 25133 c7fe45cf4b819c5991fe208aaa96edf142730f1d)"
	.section	".note.GNU-stack","",@progbits
	.addrsig
	.addrsig_sym __hip_cuid_b80f09cf0f0a9f47
	.amdgpu_metadata
---
amdhsa.kernels:
  - .args:
      - .actual_access:  read_only
        .address_space:  global
        .offset:         0
        .size:           8
        .value_kind:     global_buffer
      - .offset:         8
        .size:           8
        .value_kind:     by_value
      - .actual_access:  read_only
        .address_space:  global
        .offset:         16
        .size:           8
        .value_kind:     global_buffer
      - .actual_access:  read_only
        .address_space:  global
        .offset:         24
        .size:           8
        .value_kind:     global_buffer
      - .offset:         32
        .size:           8
        .value_kind:     by_value
      - .actual_access:  read_only
        .address_space:  global
        .offset:         40
        .size:           8
        .value_kind:     global_buffer
      - .actual_access:  read_only
        .address_space:  global
        .offset:         48
        .size:           8
        .value_kind:     global_buffer
      - .offset:         56
        .size:           4
        .value_kind:     by_value
      - .actual_access:  read_only
        .address_space:  global
        .offset:         64
        .size:           8
        .value_kind:     global_buffer
      - .actual_access:  read_only
        .address_space:  global
        .offset:         72
        .size:           8
        .value_kind:     global_buffer
      - .address_space:  global
        .offset:         80
        .size:           8
        .value_kind:     global_buffer
    .group_segment_fixed_size: 0
    .kernarg_segment_align: 8
    .kernarg_segment_size: 88
    .language:       OpenCL C
    .language_version:
      - 2
      - 0
    .max_flat_workgroup_size: 64
    .name:           fft_rtc_fwd_len52_factors_13_4_wgs_64_tpt_4_halfLds_dp_ip_CI_unitstride_sbrr_C2R_dirReg
    .private_segment_fixed_size: 0
    .sgpr_count:     44
    .sgpr_spill_count: 0
    .symbol:         fft_rtc_fwd_len52_factors_13_4_wgs_64_tpt_4_halfLds_dp_ip_CI_unitstride_sbrr_C2R_dirReg.kd
    .uniform_work_group_size: 1
    .uses_dynamic_stack: false
    .vgpr_count:     239
    .vgpr_spill_count: 0
    .wavefront_size: 32
    .workgroup_processor_mode: 1
amdhsa.target:   amdgcn-amd-amdhsa--gfx1201
amdhsa.version:
  - 1
  - 2
...

	.end_amdgpu_metadata
